;; amdgpu-corpus repo=ROCm/rocFFT kind=compiled arch=gfx1201 opt=O3
	.text
	.amdgcn_target "amdgcn-amd-amdhsa--gfx1201"
	.amdhsa_code_object_version 6
	.protected	fft_rtc_fwd_len343_factors_7_7_7_wgs_245_tpt_49_dp_op_CI_CI_sbcc_twdbase8_2step_dirReg ; -- Begin function fft_rtc_fwd_len343_factors_7_7_7_wgs_245_tpt_49_dp_op_CI_CI_sbcc_twdbase8_2step_dirReg
	.globl	fft_rtc_fwd_len343_factors_7_7_7_wgs_245_tpt_49_dp_op_CI_CI_sbcc_twdbase8_2step_dirReg
	.p2align	8
	.type	fft_rtc_fwd_len343_factors_7_7_7_wgs_245_tpt_49_dp_op_CI_CI_sbcc_twdbase8_2step_dirReg,@function
fft_rtc_fwd_len343_factors_7_7_7_wgs_245_tpt_49_dp_op_CI_CI_sbcc_twdbase8_2step_dirReg: ; @fft_rtc_fwd_len343_factors_7_7_7_wgs_245_tpt_49_dp_op_CI_CI_sbcc_twdbase8_2step_dirReg
; %bb.0:
	s_clause 0x1
	s_load_b128 s[16:19], s[0:1], 0x18
	s_load_b64 s[26:27], s[0:1], 0x28
	s_mov_b32 s3, 0
	s_mov_b32 s4, 0x3330c000
	s_movk_i32 s5, 0xb3
	s_mov_b32 s2, s3
	s_mov_b64 s[22:23], 0
	s_add_nc_u64 s[4:5], s[2:3], s[4:5]
	s_delay_alu instid0(SALU_CYCLE_1) | instskip(NEXT) | instid1(SALU_CYCLE_1)
	s_add_co_i32 s5, s5, 0x33333280
	s_mul_u64 s[6:7], s[4:5], -5
	s_delay_alu instid0(SALU_CYCLE_1)
	s_mul_hi_u32 s9, s4, s7
	s_mul_i32 s8, s4, s7
	s_mul_hi_u32 s2, s4, s6
	s_mul_i32 s11, s5, s6
	s_add_nc_u64 s[8:9], s[2:3], s[8:9]
	s_mul_hi_u32 s10, s5, s6
	s_mul_hi_u32 s12, s5, s7
	s_wait_kmcnt 0x0
	s_load_b64 s[28:29], s[16:17], 0x8
	s_add_co_u32 s2, s8, s11
	s_add_co_ci_u32 s2, s9, s10
	s_mul_i32 s6, s5, s7
	s_add_co_ci_u32 s7, s12, 0
	s_delay_alu instid0(SALU_CYCLE_1) | instskip(NEXT) | instid1(SALU_CYCLE_1)
	s_add_nc_u64 s[6:7], s[2:3], s[6:7]
	v_add_co_u32 v1, s2, s4, s6
	s_delay_alu instid0(VALU_DEP_1) | instskip(SKIP_1) | instid1(VALU_DEP_1)
	s_cmp_lg_u32 s2, 0
	s_add_co_ci_u32 s8, s5, s7
	v_readfirstlane_b32 s9, v1
	s_wait_kmcnt 0x0
	s_add_nc_u64 s[4:5], s[28:29], -1
	s_wait_alu 0xfffe
	s_mul_hi_u32 s7, s4, s8
	s_mul_i32 s6, s4, s8
	s_mul_hi_u32 s2, s4, s9
	s_mul_hi_u32 s11, s5, s9
	s_mul_i32 s9, s5, s9
	s_wait_alu 0xfffe
	s_add_nc_u64 s[6:7], s[2:3], s[6:7]
	s_mul_hi_u32 s10, s5, s8
	s_wait_alu 0xfffe
	s_add_co_u32 s2, s6, s9
	s_add_co_ci_u32 s2, s7, s11
	s_mul_i32 s8, s5, s8
	s_add_co_ci_u32 s9, s10, 0
	s_delay_alu instid0(SALU_CYCLE_1) | instskip(SKIP_2) | instid1(SALU_CYCLE_1)
	s_add_nc_u64 s[6:7], s[2:3], s[8:9]
	s_wait_alu 0xfffe
	s_mul_u64 s[8:9], s[6:7], 5
	v_sub_co_u32 v1, s2, s4, s8
	s_delay_alu instid0(VALU_DEP_1) | instskip(SKIP_1) | instid1(VALU_DEP_1)
	s_cmp_lg_u32 s2, 0
	s_sub_co_ci_u32 s10, s5, s9
	v_sub_co_u32 v2, s4, v1, 5
	s_delay_alu instid0(VALU_DEP_1) | instskip(SKIP_2) | instid1(VALU_DEP_2)
	s_cmp_lg_u32 s4, 0
	v_readfirstlane_b32 s11, v1
	s_sub_co_ci_u32 s8, s10, 0
	v_readfirstlane_b32 s2, v2
	s_add_nc_u64 s[4:5], s[6:7], 1
	s_delay_alu instid0(VALU_DEP_1)
	s_cmp_gt_u32 s2, 4
	s_cselect_b32 s2, -1, 0
	s_wait_alu 0xfffe
	s_cmp_eq_u32 s8, 0
	s_add_nc_u64 s[8:9], s[6:7], 2
	s_cselect_b32 s2, s2, -1
	s_delay_alu instid0(SALU_CYCLE_1)
	s_cmp_lg_u32 s2, 0
	s_wait_alu 0xfffe
	s_cselect_b32 s2, s8, s4
	s_cselect_b32 s4, s9, s5
	s_cmp_gt_u32 s11, 4
	s_cselect_b32 s5, -1, 0
	s_cmp_eq_u32 s10, 0
	s_wait_alu 0xfffe
	s_cselect_b32 s5, s5, -1
	s_wait_alu 0xfffe
	s_cmp_lg_u32 s5, 0
	s_cselect_b32 s5, s4, s7
	s_cselect_b32 s4, s2, s6
	s_mov_b32 s2, ttmp9
	s_wait_alu 0xfffe
	s_add_nc_u64 s[34:35], s[4:5], 1
	s_delay_alu instid0(SALU_CYCLE_1) | instskip(NEXT) | instid1(VALU_DEP_1)
	v_cmp_lt_u64_e64 s4, s[2:3], s[34:35]
	s_and_b32 vcc_lo, exec_lo, s4
	s_cbranch_vccnz .LBB0_2
; %bb.1:
	v_cvt_f32_u32_e32 v1, s34
	s_sub_co_i32 s5, 0, s34
	s_mov_b32 s23, s3
	s_delay_alu instid0(VALU_DEP_1) | instskip(NEXT) | instid1(TRANS32_DEP_1)
	v_rcp_iflag_f32_e32 v1, v1
	v_mul_f32_e32 v1, 0x4f7ffffe, v1
	s_delay_alu instid0(VALU_DEP_1) | instskip(NEXT) | instid1(VALU_DEP_1)
	v_cvt_u32_f32_e32 v1, v1
	v_readfirstlane_b32 s4, v1
	s_wait_alu 0xfffe
	s_delay_alu instid0(VALU_DEP_1)
	s_mul_i32 s5, s5, s4
	s_wait_alu 0xfffe
	s_mul_hi_u32 s5, s4, s5
	s_wait_alu 0xfffe
	s_add_co_i32 s4, s4, s5
	s_wait_alu 0xfffe
	s_mul_hi_u32 s4, s2, s4
	s_wait_alu 0xfffe
	s_mul_i32 s5, s4, s34
	s_add_co_i32 s6, s4, 1
	s_wait_alu 0xfffe
	s_sub_co_i32 s5, s2, s5
	s_wait_alu 0xfffe
	s_sub_co_i32 s7, s5, s34
	s_cmp_ge_u32 s5, s34
	s_cselect_b32 s4, s6, s4
	s_wait_alu 0xfffe
	s_cselect_b32 s5, s7, s5
	s_add_co_i32 s6, s4, 1
	s_wait_alu 0xfffe
	s_cmp_ge_u32 s5, s34
	s_cselect_b32 s22, s6, s4
.LBB0_2:
	s_load_b128 s[8:11], s[0:1], 0x8
	s_load_b128 s[12:15], s[18:19], 0x0
	;; [unrolled: 1-line block ×3, first 2 shown]
	s_load_b64 s[24:25], s[0:1], 0x0
	s_mul_u64 s[20:21], s[22:23], s[34:35]
	s_delay_alu instid0(SALU_CYCLE_1) | instskip(NEXT) | instid1(SALU_CYCLE_1)
	s_sub_nc_u64 s[20:21], s[2:3], s[20:21]
	s_mul_u64 s[36:37], s[20:21], 5
	s_wait_kmcnt 0x0
	v_cmp_lt_u64_e64 s33, s[10:11], 3
	s_mul_u64 s[30:31], s[14:15], s[36:37]
	s_mul_u64 s[20:21], s[6:7], s[36:37]
	s_delay_alu instid0(VALU_DEP_1)
	s_and_b32 vcc_lo, exec_lo, s33
	s_cbranch_vccnz .LBB0_12
; %bb.3:
	s_add_nc_u64 s[38:39], s[26:27], 16
	s_add_nc_u64 s[40:41], s[18:19], 16
	;; [unrolled: 1-line block ×3, first 2 shown]
	s_mov_b64 s[42:43], 2
	s_mov_b32 s44, 0
.LBB0_4:                                ; =>This Inner Loop Header: Depth=1
	s_load_b64 s[46:47], s[16:17], 0x0
                                        ; implicit-def: $sgpr50_sgpr51
	s_wait_kmcnt 0x0
	s_or_b64 s[48:49], s[22:23], s[46:47]
	s_delay_alu instid0(SALU_CYCLE_1)
	s_mov_b32 s45, s49
	s_mov_b32 s49, -1
	s_cmp_lg_u64 s[44:45], 0
	s_cbranch_scc0 .LBB0_6
; %bb.5:                                ;   in Loop: Header=BB0_4 Depth=1
	s_cvt_f32_u32 s33, s46
	s_cvt_f32_u32 s45, s47
	s_sub_nc_u64 s[52:53], 0, s[46:47]
	s_mov_b32 s49, 0
	s_mov_b32 s57, s44
	s_wait_alu 0xfffe
	s_fmamk_f32 s33, s45, 0x4f800000, s33
	s_wait_alu 0xfffe
	s_delay_alu instid0(SALU_CYCLE_2) | instskip(NEXT) | instid1(TRANS32_DEP_1)
	v_s_rcp_f32 s33, s33
	s_mul_f32 s33, s33, 0x5f7ffffc
	s_wait_alu 0xfffe
	s_delay_alu instid0(SALU_CYCLE_2) | instskip(NEXT) | instid1(SALU_CYCLE_3)
	s_mul_f32 s45, s33, 0x2f800000
	s_trunc_f32 s45, s45
	s_delay_alu instid0(SALU_CYCLE_3) | instskip(SKIP_2) | instid1(SALU_CYCLE_1)
	s_fmamk_f32 s33, s45, 0xcf800000, s33
	s_cvt_u32_f32 s51, s45
	s_wait_alu 0xfffe
	s_cvt_u32_f32 s50, s33
	s_wait_alu 0xfffe
	s_delay_alu instid0(SALU_CYCLE_2)
	s_mul_u64 s[54:55], s[52:53], s[50:51]
	s_wait_alu 0xfffe
	s_mul_hi_u32 s59, s50, s55
	s_mul_i32 s58, s50, s55
	s_mul_hi_u32 s48, s50, s54
	s_mul_i32 s45, s51, s54
	s_add_nc_u64 s[58:59], s[48:49], s[58:59]
	s_mul_hi_u32 s33, s51, s54
	s_mul_hi_u32 s60, s51, s55
	s_add_co_u32 s45, s58, s45
	s_wait_alu 0xfffe
	s_add_co_ci_u32 s56, s59, s33
	s_mul_i32 s54, s51, s55
	s_add_co_ci_u32 s55, s60, 0
	s_wait_alu 0xfffe
	s_add_nc_u64 s[54:55], s[56:57], s[54:55]
	s_wait_alu 0xfffe
	v_add_co_u32 v1, s33, s50, s54
	s_delay_alu instid0(VALU_DEP_1) | instskip(SKIP_1) | instid1(VALU_DEP_1)
	s_cmp_lg_u32 s33, 0
	s_add_co_ci_u32 s51, s51, s55
	v_readfirstlane_b32 s50, v1
	s_mov_b32 s55, s44
	s_wait_alu 0xfffe
	s_delay_alu instid0(VALU_DEP_1)
	s_mul_u64 s[52:53], s[52:53], s[50:51]
	s_wait_alu 0xfffe
	s_mul_hi_u32 s57, s50, s53
	s_mul_i32 s56, s50, s53
	s_mul_hi_u32 s48, s50, s52
	s_mul_i32 s45, s51, s52
	s_add_nc_u64 s[56:57], s[48:49], s[56:57]
	s_mul_hi_u32 s33, s51, s52
	s_mul_hi_u32 s50, s51, s53
	s_add_co_u32 s45, s56, s45
	s_wait_alu 0xfffe
	s_add_co_ci_u32 s54, s57, s33
	s_mul_i32 s52, s51, s53
	s_add_co_ci_u32 s53, s50, 0
	s_wait_alu 0xfffe
	s_add_nc_u64 s[52:53], s[54:55], s[52:53]
	s_wait_alu 0xfffe
	v_add_co_u32 v1, s33, v1, s52
	s_delay_alu instid0(VALU_DEP_1) | instskip(SKIP_1) | instid1(VALU_DEP_1)
	s_cmp_lg_u32 s33, 0
	s_add_co_ci_u32 s33, s51, s53
	v_readfirstlane_b32 s45, v1
	s_wait_alu 0xfffe
	s_mul_hi_u32 s51, s22, s33
	s_mul_i32 s50, s22, s33
	s_mul_hi_u32 s53, s23, s33
	s_mul_i32 s52, s23, s33
	;; [unrolled: 2-line block ×3, first 2 shown]
	s_wait_alu 0xfffe
	s_add_nc_u64 s[50:51], s[48:49], s[50:51]
	s_mul_hi_u32 s45, s23, s45
	s_wait_alu 0xfffe
	s_add_co_u32 s33, s50, s33
	s_add_co_ci_u32 s54, s51, s45
	s_add_co_ci_u32 s53, s53, 0
	s_wait_alu 0xfffe
	s_add_nc_u64 s[50:51], s[54:55], s[52:53]
	s_wait_alu 0xfffe
	s_mul_u64 s[52:53], s[46:47], s[50:51]
	s_add_nc_u64 s[54:55], s[50:51], 1
	s_wait_alu 0xfffe
	v_sub_co_u32 v1, s33, s22, s52
	s_sub_co_i32 s45, s23, s53
	s_cmp_lg_u32 s33, 0
	s_add_nc_u64 s[56:57], s[50:51], 2
	s_delay_alu instid0(VALU_DEP_1) | instskip(SKIP_2) | instid1(VALU_DEP_1)
	v_sub_co_u32 v2, s48, v1, s46
	s_sub_co_ci_u32 s45, s45, s47
	s_cmp_lg_u32 s48, 0
	v_readfirstlane_b32 s48, v2
	s_sub_co_ci_u32 s45, s45, 0
	s_delay_alu instid0(SALU_CYCLE_1) | instskip(SKIP_1) | instid1(VALU_DEP_1)
	s_cmp_ge_u32 s45, s47
	s_cselect_b32 s52, -1, 0
	s_cmp_ge_u32 s48, s46
	s_cselect_b32 s48, -1, 0
	s_cmp_eq_u32 s45, s47
	s_wait_alu 0xfffe
	s_cselect_b32 s45, s48, s52
	s_delay_alu instid0(SALU_CYCLE_1)
	s_cmp_lg_u32 s45, 0
	s_cselect_b32 s45, s56, s54
	s_cselect_b32 s48, s57, s55
	s_cmp_lg_u32 s33, 0
	v_readfirstlane_b32 s33, v1
	s_sub_co_ci_u32 s52, s23, s53
	s_wait_alu 0xfffe
	s_cmp_ge_u32 s52, s47
	s_cselect_b32 s53, -1, 0
	s_cmp_ge_u32 s33, s46
	s_cselect_b32 s33, -1, 0
	s_cmp_eq_u32 s52, s47
	s_wait_alu 0xfffe
	s_cselect_b32 s33, s33, s53
	s_wait_alu 0xfffe
	s_cmp_lg_u32 s33, 0
	s_cselect_b32 s51, s48, s51
	s_cselect_b32 s50, s45, s50
.LBB0_6:                                ;   in Loop: Header=BB0_4 Depth=1
	s_and_not1_b32 vcc_lo, exec_lo, s49
	s_cbranch_vccnz .LBB0_8
; %bb.7:                                ;   in Loop: Header=BB0_4 Depth=1
	v_cvt_f32_u32_e32 v1, s46
	s_sub_co_i32 s45, 0, s46
	s_mov_b32 s51, s44
	s_delay_alu instid0(VALU_DEP_1) | instskip(NEXT) | instid1(TRANS32_DEP_1)
	v_rcp_iflag_f32_e32 v1, v1
	v_mul_f32_e32 v1, 0x4f7ffffe, v1
	s_delay_alu instid0(VALU_DEP_1) | instskip(NEXT) | instid1(VALU_DEP_1)
	v_cvt_u32_f32_e32 v1, v1
	v_readfirstlane_b32 s33, v1
	s_delay_alu instid0(VALU_DEP_1) | instskip(NEXT) | instid1(SALU_CYCLE_1)
	s_mul_i32 s45, s45, s33
	s_mul_hi_u32 s45, s33, s45
	s_delay_alu instid0(SALU_CYCLE_1)
	s_add_co_i32 s33, s33, s45
	s_wait_alu 0xfffe
	s_mul_hi_u32 s33, s22, s33
	s_wait_alu 0xfffe
	s_mul_i32 s45, s33, s46
	s_add_co_i32 s48, s33, 1
	s_sub_co_i32 s45, s22, s45
	s_delay_alu instid0(SALU_CYCLE_1)
	s_sub_co_i32 s49, s45, s46
	s_cmp_ge_u32 s45, s46
	s_cselect_b32 s33, s48, s33
	s_cselect_b32 s45, s49, s45
	s_wait_alu 0xfffe
	s_add_co_i32 s48, s33, 1
	s_cmp_ge_u32 s45, s46
	s_cselect_b32 s50, s48, s33
.LBB0_8:                                ;   in Loop: Header=BB0_4 Depth=1
	s_load_b64 s[48:49], s[40:41], 0x0
	s_load_b64 s[52:53], s[38:39], 0x0
	s_add_nc_u64 s[42:43], s[42:43], 1
	s_mul_u64 s[34:35], s[46:47], s[34:35]
	s_wait_alu 0xfffe
	v_cmp_ge_u64_e64 s33, s[42:43], s[10:11]
	s_mul_u64 s[46:47], s[50:51], s[46:47]
	s_add_nc_u64 s[38:39], s[38:39], 8
	s_wait_alu 0xfffe
	s_sub_nc_u64 s[22:23], s[22:23], s[46:47]
	s_add_nc_u64 s[40:41], s[40:41], 8
	s_add_nc_u64 s[16:17], s[16:17], 8
	s_and_b32 vcc_lo, exec_lo, s33
	s_wait_kmcnt 0x0
	s_wait_alu 0xfffe
	s_mul_u64 s[46:47], s[48:49], s[22:23]
	s_mul_u64 s[22:23], s[52:53], s[22:23]
	s_wait_alu 0xfffe
	s_add_nc_u64 s[30:31], s[46:47], s[30:31]
	s_add_nc_u64 s[20:21], s[22:23], s[20:21]
	s_cbranch_vccnz .LBB0_10
; %bb.9:                                ;   in Loop: Header=BB0_4 Depth=1
	s_mov_b64 s[22:23], s[50:51]
	s_branch .LBB0_4
.LBB0_10:
	v_cmp_lt_u64_e64 s3, s[2:3], s[34:35]
	s_mov_b64 s[22:23], 0
	s_delay_alu instid0(VALU_DEP_1)
	s_and_b32 vcc_lo, exec_lo, s3
	s_cbranch_vccnz .LBB0_12
; %bb.11:
	v_cvt_f32_u32_e32 v1, s34
	s_sub_co_i32 s16, 0, s34
	s_mov_b32 s23, 0
	s_delay_alu instid0(VALU_DEP_1) | instskip(NEXT) | instid1(TRANS32_DEP_1)
	v_rcp_iflag_f32_e32 v1, v1
	v_mul_f32_e32 v1, 0x4f7ffffe, v1
	s_delay_alu instid0(VALU_DEP_1) | instskip(NEXT) | instid1(VALU_DEP_1)
	v_cvt_u32_f32_e32 v1, v1
	v_readfirstlane_b32 s3, v1
	s_delay_alu instid0(VALU_DEP_1) | instskip(NEXT) | instid1(SALU_CYCLE_1)
	s_mul_i32 s16, s16, s3
	s_mul_hi_u32 s16, s3, s16
	s_delay_alu instid0(SALU_CYCLE_1) | instskip(SKIP_4) | instid1(SALU_CYCLE_1)
	s_add_co_i32 s3, s3, s16
	s_wait_alu 0xfffe
	s_mul_hi_u32 s3, s2, s3
	s_wait_alu 0xfffe
	s_mul_i32 s16, s3, s34
	s_sub_co_i32 s2, s2, s16
	s_add_co_i32 s16, s3, 1
	s_wait_alu 0xfffe
	s_sub_co_i32 s17, s2, s34
	s_cmp_ge_u32 s2, s34
	s_cselect_b32 s3, s16, s3
	s_cselect_b32 s2, s17, s2
	s_wait_alu 0xfffe
	s_add_co_i32 s16, s3, 1
	s_cmp_ge_u32 s2, s34
	s_cselect_b32 s22, s16, s3
.LBB0_12:
	v_mul_u32_u24_e32 v1, 0x3334, v0
	s_load_b128 s[0:3], s[0:1], 0x60
	s_lshl_b64 s[10:11], s[10:11], 3
                                        ; implicit-def: $vgpr11_vgpr12
                                        ; implicit-def: $vgpr23_vgpr24
                                        ; implicit-def: $vgpr15_vgpr16
                                        ; implicit-def: $vgpr19_vgpr20
                                        ; implicit-def: $vgpr27_vgpr28
                                        ; implicit-def: $vgpr7_vgpr8
                                        ; implicit-def: $vgpr3_vgpr4
	s_delay_alu instid0(VALU_DEP_1) | instskip(NEXT) | instid1(VALU_DEP_1)
	v_lshrrev_b32_e32 v32, 16, v1
	v_mul_lo_u16 v1, v32, 5
	s_delay_alu instid0(VALU_DEP_1) | instskip(NEXT) | instid1(VALU_DEP_1)
	v_sub_nc_u16 v1, v0, v1
	v_and_b32_e32 v31, 0xffff, v1
                                        ; kill: def $vgpr1_vgpr2 killed $sgpr0_sgpr1 killed $exec
	s_delay_alu instid0(VALU_DEP_1) | instskip(NEXT) | instid1(VALU_DEP_1)
	v_add_co_u32 v29, s16, s36, v31
	v_add_co_ci_u32_e64 v30, null, s37, 0, s16
	s_add_nc_u64 s[16:17], s[36:37], 5
	s_wait_alu 0xfffe
	s_add_nc_u64 s[36:37], s[26:27], s[10:11]
	v_cmp_le_u64_e64 s16, s[16:17], s[28:29]
	v_cmp_gt_u64_e32 vcc_lo, s[28:29], v[29:30]
	s_delay_alu instid0(VALU_DEP_2)
	s_or_b32 s33, s16, vcc_lo
	s_wait_alu 0xfffe
	s_and_saveexec_b32 s16, s33
	s_cbranch_execz .LBB0_14
; %bb.13:
	v_mad_co_u64_u32 v[1:2], null, s14, v31, 0
	s_add_nc_u64 s[10:11], s[18:19], s[10:11]
	v_mad_co_u64_u32 v[3:4], null, s12, v32, 0
	s_load_b64 s[10:11], s[10:11], 0x0
	v_add_nc_u32_e32 v19, 0xc4, v32
	v_add_nc_u32_e32 v22, 0x126, v32
	s_delay_alu instid0(VALU_DEP_3) | instskip(SKIP_3) | instid1(VALU_DEP_3)
	v_mad_co_u64_u32 v[5:6], null, s15, v31, v[2:3]
	v_add_nc_u32_e32 v11, 49, v32
	s_lshl_b64 s[14:15], s[30:31], 4
	v_mad_co_u64_u32 v[13:14], null, s12, v19, 0
	v_mov_b32_e32 v2, v5
	s_delay_alu instid0(VALU_DEP_3)
	v_mad_co_u64_u32 v[6:7], null, s12, v11, 0
	v_mad_co_u64_u32 v[8:9], null, s13, v32, v[4:5]
	v_add_nc_u32_e32 v12, 0x62, v32
	s_wait_kmcnt 0x0
	s_mul_u64 s[10:11], s[10:11], s[22:23]
	v_lshlrev_b64_e32 v[1:2], 4, v[1:2]
	s_wait_alu 0xfffe
	s_lshl_b64 s[10:11], s[10:11], 4
	v_mov_b32_e32 v5, v7
	v_mad_co_u64_u32 v[9:10], null, s12, v12, 0
	v_mov_b32_e32 v4, v8
	s_wait_alu 0xfffe
	s_add_nc_u64 s[0:1], s[0:1], s[10:11]
	v_mad_co_u64_u32 v[7:8], null, s13, v11, v[5:6]
	s_add_nc_u64 s[0:1], s[0:1], s[14:15]
	v_lshlrev_b64_e32 v[3:4], 4, v[3:4]
	v_add_co_u32 v23, vcc_lo, s0, v1
	v_add_co_ci_u32_e32 v24, vcc_lo, s1, v2, vcc_lo
	s_delay_alu instid0(VALU_DEP_2) | instskip(SKIP_2) | instid1(VALU_DEP_3)
	v_add_co_u32 v1, vcc_lo, v23, v3
	v_mov_b32_e32 v3, v10
	s_wait_alu 0xfffd
	v_add_co_ci_u32_e32 v2, vcc_lo, v24, v4, vcc_lo
	v_lshlrev_b64_e32 v[4:5], 4, v[6:7]
	s_delay_alu instid0(VALU_DEP_1)
	v_mad_co_u64_u32 v[6:7], null, s13, v12, v[3:4]
	v_add_nc_u32_e32 v17, 0x93, v32
	v_add_co_u32 v7, vcc_lo, v23, v4
	v_mov_b32_e32 v4, v14
	s_wait_alu 0xfffd
	v_add_co_ci_u32_e32 v8, vcc_lo, v24, v5, vcc_lo
	v_mov_b32_e32 v10, v6
	v_mad_co_u64_u32 v[11:12], null, s12, v17, 0
	s_delay_alu instid0(VALU_DEP_2) | instskip(NEXT) | instid1(VALU_DEP_2)
	v_lshlrev_b64_e32 v[9:10], 4, v[9:10]
	v_mov_b32_e32 v3, v12
	s_delay_alu instid0(VALU_DEP_2) | instskip(SKIP_1) | instid1(VALU_DEP_3)
	v_add_co_u32 v9, vcc_lo, v23, v9
	s_wait_alu 0xfffd
	v_add_co_ci_u32_e32 v10, vcc_lo, v24, v10, vcc_lo
	s_delay_alu instid0(VALU_DEP_3)
	v_mad_co_u64_u32 v[17:18], null, s13, v17, v[3:4]
	v_add_nc_u32_e32 v21, 0xf5, v32
	v_mad_co_u64_u32 v[18:19], null, s13, v19, v[4:5]
	v_mad_co_u64_u32 v[19:20], null, s12, v22, 0
	s_clause 0x1
	global_load_b128 v[1:4], v[1:2], off
	global_load_b128 v[5:8], v[7:8], off
	v_mov_b32_e32 v12, v17
	v_mad_co_u64_u32 v[15:16], null, s12, v21, 0
	v_mov_b32_e32 v14, v18
	s_delay_alu instid0(VALU_DEP_3) | instskip(NEXT) | instid1(VALU_DEP_3)
	v_lshlrev_b64_e32 v[11:12], 4, v[11:12]
	v_mad_co_u64_u32 v[16:17], null, s13, v21, v[16:17]
	v_mov_b32_e32 v17, v20
	s_delay_alu instid0(VALU_DEP_4) | instskip(NEXT) | instid1(VALU_DEP_4)
	v_lshlrev_b64_e32 v[13:14], 4, v[13:14]
	v_add_co_u32 v11, vcc_lo, v23, v11
	s_wait_alu 0xfffd
	v_add_co_ci_u32_e32 v12, vcc_lo, v24, v12, vcc_lo
	v_mad_co_u64_u32 v[17:18], null, s13, v22, v[17:18]
	v_lshlrev_b64_e32 v[15:16], 4, v[15:16]
	v_add_co_u32 v13, vcc_lo, v23, v13
	s_wait_alu 0xfffd
	v_add_co_ci_u32_e32 v14, vcc_lo, v24, v14, vcc_lo
	s_delay_alu instid0(VALU_DEP_4) | instskip(NEXT) | instid1(VALU_DEP_4)
	v_mov_b32_e32 v20, v17
	v_add_co_u32 v21, vcc_lo, v23, v15
	s_wait_alu 0xfffd
	v_add_co_ci_u32_e32 v22, vcc_lo, v24, v16, vcc_lo
	s_delay_alu instid0(VALU_DEP_3) | instskip(NEXT) | instid1(VALU_DEP_1)
	v_lshlrev_b64_e32 v[17:18], 4, v[19:20]
	v_add_co_u32 v33, vcc_lo, v23, v17
	s_wait_alu 0xfffd
	s_delay_alu instid0(VALU_DEP_2)
	v_add_co_ci_u32_e32 v34, vcc_lo, v24, v18, vcc_lo
	s_clause 0x4
	global_load_b128 v[25:28], v[9:10], off
	global_load_b128 v[17:20], v[11:12], off
	;; [unrolled: 1-line block ×5, first 2 shown]
.LBB0_14:
	s_wait_alu 0xfffe
	s_or_b32 exec_lo, exec_lo, s16
	s_wait_loadcnt 0x0
	v_add_f64_e32 v[33:34], v[9:10], v[5:6]
	v_add_f64_e32 v[35:36], v[11:12], v[7:8]
	;; [unrolled: 1-line block ×4, first 2 shown]
	v_add_f64_e64 v[21:22], v[25:26], -v[21:22]
	v_add_f64_e64 v[23:24], v[27:28], -v[23:24]
	v_add_f64_e32 v[25:26], v[13:14], v[17:18]
	v_add_f64_e32 v[27:28], v[15:16], v[19:20]
	v_add_f64_e64 v[13:14], v[13:14], -v[17:18]
	v_add_f64_e64 v[15:16], v[15:16], -v[19:20]
	;; [unrolled: 1-line block ×4, first 2 shown]
	s_mov_b32 s30, 0x37e14327
	s_mov_b32 s34, 0xe976ee23
	;; [unrolled: 1-line block ×6, first 2 shown]
	s_wait_kmcnt 0x0
	s_mov_b32 s0, 0x36b3c0b5
	s_mov_b32 s1, 0x3fac98ee
	;; [unrolled: 1-line block ×10, first 2 shown]
	s_wait_alu 0xfffe
	s_mov_b32 s16, s14
	s_mov_b32 s28, s26
	s_mov_b32 s18, 0x37c3f68c
	s_mov_b32 s19, 0x3fdc38aa
	v_mul_lo_u16 v30, v32, 37
	v_lshlrev_b32_e32 v68, 4, v31
	s_load_b64 s[36:37], s[36:37], 0x0
	s_delay_alu instid0(VALU_DEP_2)
	v_lshrrev_b16 v30, 8, v30
	v_add_f64_e32 v[9:10], v[37:38], v[33:34]
	v_add_f64_e32 v[11:12], v[39:40], v[35:36]
	v_add_f64_e64 v[17:18], v[33:34], -v[25:26]
	v_add_f64_e64 v[19:20], v[35:36], -v[27:28]
	;; [unrolled: 1-line block ×6, first 2 shown]
	v_add_f64_e32 v[21:22], v[13:14], v[21:22]
	v_add_f64_e32 v[23:24], v[15:16], v[23:24]
	v_add_f64_e64 v[13:14], v[5:6], -v[13:14]
	v_add_f64_e64 v[15:16], v[7:8], -v[15:16]
	;; [unrolled: 1-line block ×4, first 2 shown]
	v_add_f64_e32 v[9:10], v[25:26], v[9:10]
	v_add_f64_e32 v[11:12], v[27:28], v[11:12]
	v_add_f64_e64 v[25:26], v[25:26], -v[37:38]
	v_add_f64_e64 v[27:28], v[27:28], -v[39:40]
	v_mul_f64_e32 v[17:18], s[30:31], v[17:18]
	v_mul_f64_e32 v[19:20], s[30:31], v[19:20]
	;; [unrolled: 1-line block ×6, first 2 shown]
	v_add_f64_e32 v[5:6], v[21:22], v[5:6]
	v_add_f64_e32 v[7:8], v[23:24], v[7:8]
	;; [unrolled: 1-line block ×4, first 2 shown]
	v_mul_f64_e32 v[37:38], s[0:1], v[25:26]
	v_mul_f64_e32 v[39:40], s[0:1], v[27:28]
	v_fma_f64 v[21:22], v[25:26], s[0:1], v[17:18]
	v_fma_f64 v[23:24], v[27:28], s[0:1], v[19:20]
	;; [unrolled: 1-line block ×4, first 2 shown]
	v_fma_f64 v[41:42], v[45:46], s[10:11], -v[41:42]
	v_fma_f64 v[43:44], v[47:48], s[10:11], -v[43:44]
	;; [unrolled: 1-line block ×6, first 2 shown]
	v_fma_f64 v[9:10], v[9:10], s[12:13], v[1:2]
	v_fma_f64 v[11:12], v[11:12], s[12:13], v[3:4]
	v_fma_f64 v[33:34], v[33:34], s[14:15], -v[37:38]
	v_fma_f64 v[35:36], v[35:36], s[14:15], -v[39:40]
	v_fma_f64 v[37:38], v[5:6], s[18:19], v[25:26]
	v_fma_f64 v[25:26], v[7:8], s[18:19], v[27:28]
	v_fma_f64 v[27:28], v[5:6], s[18:19], v[41:42]
	v_fma_f64 v[39:40], v[7:8], s[18:19], v[43:44]
	v_fma_f64 v[41:42], v[5:6], s[18:19], v[13:14]
	v_fma_f64 v[43:44], v[7:8], s[18:19], v[15:16]
	v_add_f64_e32 v[45:46], v[21:22], v[9:10]
	v_add_f64_e32 v[47:48], v[23:24], v[11:12]
	;; [unrolled: 1-line block ×6, first 2 shown]
	v_mul_lo_u16 v33, v30, 7
	v_mul_u32_u24_e32 v34, 0x230, v32
	s_delay_alu instid0(VALU_DEP_2) | instskip(NEXT) | instid1(VALU_DEP_2)
	v_sub_nc_u16 v33, v32, v33
	v_add3_u32 v34, 0, v34, v68
	s_delay_alu instid0(VALU_DEP_2) | instskip(NEXT) | instid1(VALU_DEP_1)
	v_and_b32_e32 v67, 0xff, v33
	v_mul_u32_u24_e32 v33, 6, v67
	s_delay_alu instid0(VALU_DEP_1)
	v_lshlrev_b32_e32 v33, 4, v33
	v_add_f64_e32 v[5:6], v[25:26], v[45:46]
	v_add_f64_e64 v[7:8], v[47:48], -v[37:38]
	v_add_f64_e32 v[9:10], v[43:44], v[21:22]
	v_add_f64_e64 v[11:12], v[23:24], -v[41:42]
	v_add_f64_e64 v[13:14], v[17:18], -v[39:40]
	v_add_f64_e32 v[15:16], v[27:28], v[19:20]
	v_add_f64_e32 v[17:18], v[39:40], v[17:18]
	v_add_f64_e64 v[19:20], v[19:20], -v[27:28]
	v_add_f64_e64 v[21:22], v[21:22], -v[43:44]
	v_add_f64_e32 v[23:24], v[41:42], v[23:24]
	v_add_f64_e64 v[25:26], v[45:46], -v[25:26]
	v_add_f64_e32 v[27:28], v[37:38], v[47:48]
	ds_store_b128 v34, v[1:4]
	ds_store_b128 v34, v[5:8] offset:80
	ds_store_b128 v34, v[9:12] offset:160
	;; [unrolled: 1-line block ×6, first 2 shown]
	global_wb scope:SCOPE_SE
	s_wait_dscnt 0x0
	s_wait_kmcnt 0x0
	s_barrier_signal -1
	s_barrier_wait -1
	global_inv scope:SCOPE_SE
	s_clause 0x5
	global_load_b128 v[2:5], v33, s[24:25]
	global_load_b128 v[6:9], v33, s[24:25] offset:16
	global_load_b128 v[10:13], v33, s[24:25] offset:80
	;; [unrolled: 1-line block ×5, first 2 shown]
	v_mad_i32_i24 v1, 0xfffffe20, v32, v34
	ds_load_b128 v[33:36], v1 offset:3920
	ds_load_b128 v[37:40], v1 offset:7840
	;; [unrolled: 1-line block ×6, first 2 shown]
	s_wait_loadcnt_dscnt 0x505
	v_mul_f64_e32 v[26:27], v[35:36], v[4:5]
	v_mul_f64_e32 v[4:5], v[33:34], v[4:5]
	s_wait_loadcnt_dscnt 0x404
	v_mul_f64_e32 v[57:58], v[39:40], v[8:9]
	v_mul_f64_e32 v[8:9], v[37:38], v[8:9]
	;; [unrolled: 3-line block ×6, first 2 shown]
	v_fma_f64 v[26:27], v[33:34], v[2:3], -v[26:27]
	v_fma_f64 v[2:3], v[35:36], v[2:3], v[4:5]
	v_fma_f64 v[4:5], v[37:38], v[6:7], -v[57:58]
	v_fma_f64 v[6:7], v[39:40], v[6:7], v[8:9]
	;; [unrolled: 2-line block ×6, first 2 shown]
	v_add_f64_e32 v[24:25], v[26:27], v[8:9]
	v_add_f64_e32 v[33:34], v[2:3], v[10:11]
	;; [unrolled: 1-line block ×4, first 2 shown]
	v_add_f64_e64 v[12:13], v[4:5], -v[12:13]
	v_add_f64_e64 v[6:7], v[6:7], -v[14:15]
	v_add_f64_e32 v[4:5], v[16:17], v[20:21]
	v_add_f64_e32 v[14:15], v[18:19], v[22:23]
	v_add_f64_e64 v[16:17], v[20:21], -v[16:17]
	v_add_f64_e64 v[18:19], v[22:23], -v[18:19]
	;; [unrolled: 1-line block ×4, first 2 shown]
	v_add_f64_e32 v[2:3], v[35:36], v[24:25]
	v_add_f64_e32 v[20:21], v[37:38], v[33:34]
	v_add_f64_e64 v[22:23], v[24:25], -v[4:5]
	v_add_f64_e64 v[26:27], v[33:34], -v[14:15]
	;; [unrolled: 1-line block ×7, first 2 shown]
	v_add_f64_e32 v[12:13], v[16:17], v[12:13]
	v_add_f64_e32 v[6:7], v[18:19], v[6:7]
	v_add_f64_e64 v[16:17], v[8:9], -v[16:17]
	v_add_f64_e64 v[18:19], v[10:11], -v[18:19]
	;; [unrolled: 1-line block ×4, first 2 shown]
	v_add_f64_e32 v[47:48], v[4:5], v[2:3]
	v_add_f64_e32 v[20:21], v[14:15], v[20:21]
	v_add_f64_e64 v[14:15], v[14:15], -v[37:38]
	ds_load_b128 v[2:5], v1
	v_mul_f64_e32 v[22:23], s[30:31], v[22:23]
	v_mul_f64_e32 v[26:27], s[30:31], v[26:27]
	;; [unrolled: 1-line block ×7, first 2 shown]
	v_add_f64_e32 v[8:9], v[12:13], v[8:9]
	v_add_f64_e32 v[6:7], v[6:7], v[10:11]
	global_wb scope:SCOPE_SE
	s_wait_dscnt 0x0
	s_barrier_signal -1
	s_barrier_wait -1
	global_inv scope:SCOPE_SE
	v_add_f64_e32 v[2:3], v[2:3], v[47:48]
	v_add_f64_e32 v[4:5], v[4:5], v[20:21]
	v_mul_f64_e32 v[37:38], s[0:1], v[14:15]
	v_fma_f64 v[10:11], v[49:50], s[0:1], v[22:23]
	v_fma_f64 v[12:13], v[14:15], s[0:1], v[26:27]
	;; [unrolled: 1-line block ×4, first 2 shown]
	v_fma_f64 v[39:40], v[43:44], s[10:11], -v[39:40]
	v_fma_f64 v[16:17], v[16:17], s[28:29], -v[51:52]
	;; [unrolled: 1-line block ×7, first 2 shown]
	v_fma_f64 v[43:44], v[47:48], s[12:13], v[2:3]
	v_fma_f64 v[20:21], v[20:21], s[12:13], v[4:5]
	v_fma_f64 v[33:34], v[33:34], s[14:15], -v[37:38]
	v_fma_f64 v[35:36], v[8:9], s[18:19], v[14:15]
	v_fma_f64 v[37:38], v[6:7], s[18:19], v[49:50]
	;; [unrolled: 1-line block ×6, first 2 shown]
	v_add_f64_e32 v[49:50], v[10:11], v[43:44]
	v_add_f64_e32 v[51:52], v[12:13], v[20:21]
	;; [unrolled: 1-line block ×7, first 2 shown]
	v_add_f64_e64 v[8:9], v[51:52], -v[35:36]
	v_add_f64_e32 v[10:11], v[47:48], v[22:23]
	v_add_f64_e64 v[12:13], v[26:27], -v[45:46]
	v_add_f64_e64 v[14:15], v[18:19], -v[41:42]
	v_add_f64_e32 v[16:17], v[39:40], v[20:21]
	v_add_f64_e32 v[18:19], v[41:42], v[18:19]
	v_add_f64_e64 v[20:21], v[20:21], -v[39:40]
	v_add_f64_e64 v[22:23], v[22:23], -v[47:48]
	v_add_f64_e32 v[24:25], v[45:46], v[26:27]
	v_add_f64_e64 v[33:34], v[49:50], -v[37:38]
	v_add_f64_e32 v[35:36], v[35:36], v[51:52]
	v_and_b32_e32 v26, 0xffff, v30
	s_delay_alu instid0(VALU_DEP_1) | instskip(NEXT) | instid1(VALU_DEP_1)
	v_mad_u32_u24 v26, v26, 49, v67
	v_mul_u32_u24_e32 v26, 0x50, v26
	s_delay_alu instid0(VALU_DEP_1)
	v_add3_u32 v26, 0, v26, v68
	ds_store_b128 v26, v[2:5]
	ds_store_b128 v26, v[6:9] offset:560
	ds_store_b128 v26, v[10:13] offset:1120
	;; [unrolled: 1-line block ×6, first 2 shown]
	global_wb scope:SCOPE_SE
	s_wait_dscnt 0x0
	s_barrier_signal -1
	s_barrier_wait -1
	global_inv scope:SCOPE_SE
	s_and_saveexec_b32 s38, s33
	s_cbranch_execz .LBB0_16
; %bb.15:
	v_mul_lo_u16 v2, v32, 21
	v_and_b32_e32 v90, 0xffff, v0
	s_delay_alu instid0(VALU_DEP_2) | instskip(NEXT) | instid1(VALU_DEP_1)
	v_lshrrev_b16 v2, 10, v2
	v_mul_lo_u16 v2, v2, 49
	s_delay_alu instid0(VALU_DEP_1) | instskip(NEXT) | instid1(VALU_DEP_1)
	v_sub_nc_u16 v2, v32, v2
	v_and_b32_e32 v2, 0xff, v2
	s_delay_alu instid0(VALU_DEP_1) | instskip(SKIP_3) | instid1(VALU_DEP_4)
	v_mul_u32_u24_e32 v3, 6, v2
	v_mul_lo_u32 v27, v29, v2
	v_add_nc_u32_e32 v30, 0xc4, v2
	v_add_nc_u32_e32 v69, 0x93, v2
	v_lshlrev_b32_e32 v23, 4, v3
	s_clause 0x5
	global_load_b128 v[3:6], v23, s[24:25] offset:704
	global_load_b128 v[7:10], v23, s[24:25] offset:720
	;; [unrolled: 1-line block ×6, first 2 shown]
	v_and_b32_e32 v28, 0xff, v27
	v_lshrrev_b32_e32 v27, 4, v27
	v_mul_lo_u32 v30, v29, v30
	v_mul_lo_u32 v76, v29, v69
	s_delay_alu instid0(VALU_DEP_4) | instskip(NEXT) | instid1(VALU_DEP_4)
	v_lshlrev_b32_e32 v28, 4, v28
	v_and_b32_e32 v27, 0xff0, v27
	s_clause 0x1
	global_load_b128 v[32:35], v28, s[8:9]
	global_load_b128 v[36:39], v27, s[8:9] offset:4096
	v_add_nc_u32_e32 v27, 0x126, v2
	v_and_b32_e32 v68, 0xff, v30
	v_lshrrev_b32_e32 v30, 4, v30
	v_lshrrev_b32_e32 v80, 4, v76
	s_delay_alu instid0(VALU_DEP_4) | instskip(NEXT) | instid1(VALU_DEP_4)
	v_mul_lo_u32 v27, v29, v27
	v_lshlrev_b32_e32 v68, 4, v68
	s_delay_alu instid0(VALU_DEP_4) | instskip(NEXT) | instid1(VALU_DEP_4)
	v_and_b32_e32 v30, 0xff0, v30
	v_and_b32_e32 v84, 0xff0, v80
	s_delay_alu instid0(VALU_DEP_4) | instskip(SKIP_1) | instid1(VALU_DEP_2)
	v_and_b32_e32 v28, 0xff, v27
	v_lshrrev_b32_e32 v27, 4, v27
	v_lshlrev_b32_e32 v28, 4, v28
	s_delay_alu instid0(VALU_DEP_2)
	v_and_b32_e32 v27, 0xff0, v27
	s_clause 0x1
	global_load_b128 v[40:43], v28, s[8:9]
	global_load_b128 v[44:47], v27, s[8:9] offset:4096
	v_add_nc_u32_e32 v27, 0xf5, v2
	ds_load_b128 v[48:51], v1 offset:11760
	ds_load_b128 v[52:55], v1 offset:7840
	v_mul_lo_u32 v27, v29, v27
	s_delay_alu instid0(VALU_DEP_1) | instskip(SKIP_1) | instid1(VALU_DEP_2)
	v_and_b32_e32 v28, 0xff, v27
	v_lshrrev_b32_e32 v27, 4, v27
	v_lshlrev_b32_e32 v28, 4, v28
	s_delay_alu instid0(VALU_DEP_2)
	v_and_b32_e32 v27, 0xff0, v27
	s_clause 0x1
	global_load_b128 v[56:59], v28, s[8:9]
	global_load_b128 v[60:63], v27, s[8:9] offset:4096
	ds_load_b128 v[64:67], v1 offset:15680
	s_clause 0x1
	global_load_b128 v[68:71], v68, s[8:9]
	global_load_b128 v[72:75], v30, s[8:9] offset:4096
	v_and_b32_e32 v30, 0xff, v76
	ds_load_b128 v[76:79], v1 offset:19600
	v_lshlrev_b32_e32 v30, 4, v30
	s_wait_loadcnt_dscnt 0xd03
	v_mul_f64_e32 v[27:28], v[50:51], v[5:6]
	v_mul_f64_e32 v[5:6], v[48:49], v[5:6]
	s_wait_loadcnt_dscnt 0xc01
	v_mul_f64_e32 v[80:81], v[66:67], v[9:10]
	v_mul_f64_e32 v[9:10], v[64:65], v[9:10]
	s_wait_loadcnt_dscnt 0xa00
	v_mul_f64_e32 v[86:87], v[78:79], v[17:18]
	v_mul_f64_e32 v[17:18], v[76:77], v[17:18]
	v_fma_f64 v[27:28], v[48:49], v[3:4], -v[27:28]
	v_fma_f64 v[82:83], v[50:51], v[3:4], v[5:6]
	s_clause 0x1
	global_load_b128 v[3:6], v30, s[8:9]
	global_load_b128 v[48:51], v84, s[8:9] offset:4096
	v_mul_f64_e32 v[84:85], v[54:55], v[13:14]
	v_mul_f64_e32 v[13:14], v[52:53], v[13:14]
	v_fma_f64 v[64:65], v[64:65], v[7:8], -v[80:81]
	v_fma_f64 v[66:67], v[66:67], v[7:8], v[9:10]
	ds_load_b128 v[7:10], v1 offset:3920
	v_add_nc_u32_e32 v30, 0x62, v2
	v_fma_f64 v[76:77], v[76:77], v[15:16], -v[86:87]
	v_fma_f64 v[78:79], v[78:79], v[15:16], v[17:18]
	s_delay_alu instid0(VALU_DEP_3)
	v_mul_lo_u32 v30, v29, v30
	v_fma_f64 v[80:81], v[52:53], v[11:12], -v[84:85]
	v_fma_f64 v[84:85], v[54:55], v[11:12], v[13:14]
	ds_load_b128 v[11:14], v1
	s_wait_loadcnt_dscnt 0xb01
	v_mul_f64_e32 v[88:89], v[9:10], v[21:22]
	v_mul_f64_e32 v[21:22], v[7:8], v[21:22]
	v_and_b32_e32 v52, 0xff, v30
	v_lshrrev_b32_e32 v30, 4, v30
	s_delay_alu instid0(VALU_DEP_2) | instskip(NEXT) | instid1(VALU_DEP_2)
	v_lshlrev_b32_e32 v52, 4, v52
	v_and_b32_e32 v30, 0xff0, v30
	s_clause 0x1
	global_load_b128 v[15:18], v52, s[8:9]
	global_load_b128 v[52:55], v30, s[8:9] offset:4096
	v_fma_f64 v[86:87], v[7:8], v[19:20], -v[88:89]
	v_fma_f64 v[88:89], v[9:10], v[19:20], v[21:22]
	ds_load_b128 v[7:10], v1 offset:23520
	v_add_nc_u32_e32 v1, 49, v2
	s_delay_alu instid0(VALU_DEP_1) | instskip(SKIP_3) | instid1(VALU_DEP_3)
	v_mul_lo_u32 v1, v29, v1
	s_wait_loadcnt_dscnt 0xc00
	v_mul_f64_e32 v[19:20], v[9:10], v[25:26]
	v_mul_f64_e32 v[21:22], v[7:8], v[25:26]
	v_and_b32_e32 v25, 0xff, v1
	v_lshrrev_b32_e32 v1, 4, v1
	s_delay_alu instid0(VALU_DEP_2) | instskip(NEXT) | instid1(VALU_DEP_2)
	v_lshlrev_b32_e32 v29, 4, v25
	v_and_b32_e32 v1, 0xff0, v1
	v_fma_f64 v[25:26], v[7:8], v[23:24], -v[19:20]
	v_fma_f64 v[23:24], v[9:10], v[23:24], v[21:22]
	s_clause 0x1
	global_load_b128 v[7:10], v29, s[8:9]
	global_load_b128 v[19:22], v1, s[8:9] offset:4096
	s_wait_loadcnt 0xc
	v_mul_f64_e32 v[29:30], v[34:35], v[38:39]
	v_mul_f64_e32 v[38:39], v[32:33], v[38:39]
	s_lshl_b64 s[8:9], s[20:21], 4
	s_delay_alu instid0(VALU_DEP_2) | instskip(NEXT) | instid1(VALU_DEP_2)
	v_fma_f64 v[29:30], v[32:33], v[36:37], -v[29:30]
	v_fma_f64 v[32:33], v[34:35], v[36:37], v[38:39]
	s_wait_loadcnt 0xa
	v_mul_f64_e32 v[34:35], v[42:43], v[46:47]
	v_mul_f64_e32 v[36:37], v[40:41], v[46:47]
	s_wait_loadcnt 0x8
	v_mul_f64_e32 v[46:47], v[58:59], v[62:63]
	v_mul_f64_e32 v[62:63], v[56:57], v[62:63]
	v_add_f64_e32 v[38:39], v[84:85], v[78:79]
	v_add_f64_e64 v[78:79], v[84:85], -v[78:79]
	v_add_f64_e64 v[84:85], v[66:67], -v[82:83]
	v_add_f64_e32 v[66:67], v[82:83], v[66:67]
	v_fma_f64 v[34:35], v[40:41], v[44:45], -v[34:35]
	v_fma_f64 v[36:37], v[42:43], v[44:45], v[36:37]
	v_add_f64_e32 v[40:41], v[88:89], v[23:24]
	v_add_f64_e32 v[42:43], v[80:81], v[76:77]
	;; [unrolled: 1-line block ×3, first 2 shown]
	v_add_f64_e64 v[76:77], v[80:81], -v[76:77]
	v_add_f64_e64 v[25:26], v[86:87], -v[25:26]
	v_add_f64_e64 v[80:81], v[64:65], -v[27:28]
	v_fma_f64 v[46:47], v[56:57], v[60:61], -v[46:47]
	v_fma_f64 v[56:57], v[58:59], v[60:61], v[62:63]
	s_wait_loadcnt 0x6
	v_mul_f64_e32 v[86:87], v[70:71], v[74:75]
	v_mul_f64_e32 v[74:75], v[68:69], v[74:75]
	v_add_f64_e64 v[23:24], v[88:89], -v[23:24]
	v_add_f64_e32 v[27:28], v[27:28], v[64:65]
	v_add_f64_e64 v[88:89], v[66:67], -v[38:39]
	v_add_f64_e32 v[82:83], v[38:39], v[40:41]
	;; [unrolled: 2-line block ×3, first 2 shown]
	v_add_f64_e64 v[60:61], v[76:77], -v[25:26]
	v_add_f64_e64 v[62:63], v[80:81], -v[76:77]
	v_fma_f64 v[68:69], v[68:69], v[72:73], -v[86:87]
	v_fma_f64 v[70:71], v[70:71], v[72:73], v[74:75]
	v_add_f64_e64 v[72:73], v[78:79], -v[23:24]
	v_add_f64_e64 v[74:75], v[84:85], -v[78:79]
	;; [unrolled: 1-line block ×4, first 2 shown]
	v_add_f64_e32 v[66:67], v[66:67], v[82:83]
	v_add_f64_e64 v[82:83], v[27:28], -v[42:43]
	v_add_f64_e32 v[64:65], v[27:28], v[64:65]
	v_add_f64_e64 v[27:28], v[44:45], -v[27:28]
	v_mul_f64_e32 v[44:45], s[0:1], v[88:89]
	v_mul_f64_e32 v[62:63], s[34:35], v[62:63]
	v_mul_f64_e32 v[74:75], s[34:35], v[74:75]
	v_mul_f64_e32 v[42:43], s[30:31], v[86:87]
	s_wait_loadcnt 0x4
	v_mul_f64_e32 v[58:59], v[5:6], v[50:51]
	v_mul_f64_e32 v[50:51], v[3:4], v[50:51]
	v_add_f64_e32 v[13:14], v[13:14], v[66:67]
	v_mul_f64_e32 v[86:87], s[0:1], v[82:83]
	v_add_f64_e32 v[11:12], v[11:12], v[64:65]
	v_mul_f64_e32 v[27:28], s[30:31], v[27:28]
	v_fma_f64 v[44:45], v[38:39], s[14:15], -v[44:45]
	v_fma_f64 v[38:39], v[38:39], s[16:17], -v[42:43]
	;; [unrolled: 1-line block ×3, first 2 shown]
	v_fma_f64 v[0:1], v[5:6], v[48:49], v[50:51]
	v_add_f64_e32 v[5:6], v[80:81], v[76:77]
	v_mul_u32_u24_e32 v50, 0x10c, v90
	v_add_f64_e32 v[48:49], v[84:85], v[78:79]
	v_mul_f64_e32 v[76:77], s[10:11], v[60:61]
	v_mad_co_u64_u32 v[3:4], null, s6, v31, 0
	s_delay_alu instid0(VALU_DEP_4)
	v_lshrrev_b32_e32 v90, 16, v50
	v_add_f64_e64 v[50:51], v[25:26], -v[80:81]
	v_fma_f64 v[60:61], v[60:61], s[10:11], -v[62:63]
	v_fma_f64 v[66:67], v[66:67], s[12:13], v[13:14]
	v_fma_f64 v[64:65], v[64:65], s[12:13], v[11:12]
	v_mad_co_u64_u32 v[78:79], null, s7, v31, v[4:5]
	v_mul_lo_u16 v31, 0x157, v90
	v_add_f64_e64 v[79:80], v[23:24], -v[84:85]
	v_mul_f64_e32 v[84:85], s[10:11], v[72:73]
	v_add_f64_e32 v[23:24], v[48:49], v[23:24]
	v_fma_f64 v[72:73], v[72:73], s[10:11], -v[74:75]
	v_dual_mov_b32 v4, v78 :: v_dual_and_b32 v31, 0xffff, v31
	v_fma_f64 v[48:49], v[50:51], s[28:29], -v[76:77]
	v_fma_f64 v[50:51], v[50:51], s[26:27], v[62:63]
	s_wait_loadcnt 0x2
	v_mul_f64_e32 v[90:91], v[17:18], v[54:55]
	v_add_nc_u32_e32 v31, v2, v31
	v_lshlrev_b64_e32 v[2:3], 4, v[3:4]
	v_add_f64_e32 v[4:5], v[5:6], v[25:26]
	v_mul_f64_e32 v[54:55], v[15:16], v[54:55]
	s_mul_u64 s[6:7], s[36:37], s[22:23]
	v_add_nc_u32_e32 v94, 0x93, v31
	s_wait_alu 0xfffe
	s_lshl_b64 s[6:7], s[6:7], 4
	v_add_nc_u32_e32 v97, 0x126, v31
	s_wait_alu 0xfffe
	s_add_nc_u64 s[2:3], s[2:3], s[6:7]
	v_mad_co_u64_u32 v[25:26], null, s4, v31, 0
	s_wait_alu 0xfffe
	s_add_nc_u64 s[2:3], s[2:3], s[8:9]
	v_add_nc_u32_e32 v92, 49, v31
	s_wait_alu 0xfffe
	v_add_co_u32 v102, vcc_lo, s2, v2
	s_wait_alu 0xfffd
	v_add_co_ci_u32_e32 v103, vcc_lo, s3, v3, vcc_lo
	v_mad_co_u64_u32 v[2:3], null, s4, v94, 0
	v_mov_b32_e32 v6, v26
	v_add_f64_e32 v[38:39], v[38:39], v[66:67]
	v_add_nc_u32_e32 v93, 0x62, v31
	v_add_nc_u32_e32 v95, 0xc4, v31
	;; [unrolled: 1-line block ×3, first 2 shown]
	v_fma_f64 v[76:77], v[79:80], s[26:27], v[74:75]
	v_fma_f64 v[62:63], v[79:80], s[28:29], -v[84:85]
	v_fma_f64 v[78:79], v[40:41], s[14:15], -v[86:87]
	;; [unrolled: 1-line block ×3, first 2 shown]
	v_fma_f64 v[27:28], v[82:83], s[0:1], v[27:28]
	v_fma_f64 v[74:75], v[88:89], s[0:1], v[42:43]
	v_mad_co_u64_u32 v[42:43], null, s4, v92, 0
	v_fma_f64 v[82:83], v[15:16], v[52:53], -v[90:91]
	v_mad_co_u64_u32 v[80:81], null, s4, v93, 0
	v_fma_f64 v[50:51], v[4:5], s[18:19], v[50:51]
	v_fma_f64 v[48:49], v[4:5], s[18:19], v[48:49]
	;; [unrolled: 1-line block ×3, first 2 shown]
	v_mad_co_u64_u32 v[60:61], null, s4, v97, 0
	v_fma_f64 v[15:16], v[17:18], v[52:53], v[54:55]
	v_mad_co_u64_u32 v[52:53], null, s4, v95, 0
	s_wait_loadcnt 0x1
	v_mad_co_u64_u32 v[17:18], null, s5, v31, v[6:7]
	v_mov_b32_e32 v6, v43
	v_add_f64_e32 v[43:44], v[44:45], v[66:67]
	v_mov_b32_e32 v18, v81
	s_delay_alu instid0(VALU_DEP_3) | instskip(SKIP_1) | instid1(VALU_DEP_2)
	v_mad_co_u64_u32 v[54:55], null, s5, v92, v[6:7]
	s_wait_loadcnt 0x0
	v_mad_co_u64_u32 v[84:85], null, s5, v93, v[18:19]
	v_mad_co_u64_u32 v[85:86], null, s4, v96, 0
	v_mov_b32_e32 v6, v53
	v_mov_b32_e32 v26, v17
	v_fma_f64 v[76:77], v[23:24], s[18:19], v[76:77]
	v_fma_f64 v[62:63], v[23:24], s[18:19], v[62:63]
	;; [unrolled: 1-line block ×3, first 2 shown]
	v_add_f64_e32 v[72:73], v[78:79], v[64:65]
	v_add_f64_e32 v[40:41], v[40:41], v[64:65]
	;; [unrolled: 1-line block ×4, first 2 shown]
	v_mov_b32_e32 v18, v86
	v_mad_co_u64_u32 v[74:75], null, s5, v95, v[6:7]
	v_mov_b32_e32 v81, v84
	v_lshlrev_b64_e32 v[100:101], 4, v[25:26]
	s_delay_alu instid0(VALU_DEP_4) | instskip(SKIP_2) | instid1(VALU_DEP_3)
	v_mad_co_u64_u32 v[78:79], null, s5, v96, v[18:19]
	v_mad_co_u64_u32 v[64:65], null, s5, v94, v[3:4]
	v_mov_b32_e32 v3, v61
	v_dual_mov_b32 v53, v74 :: v_dual_mov_b32 v86, v78
	s_delay_alu instid0(VALU_DEP_2)
	v_mad_co_u64_u32 v[87:88], null, s5, v97, v[3:4]
	v_mul_f64_e32 v[88:89], v[7:8], v[21:22]
	v_mul_f64_e32 v[21:22], v[9:10], v[21:22]
	v_add_f64_e64 v[17:18], v[43:44], -v[4:5]
	v_add_f64_e32 v[4:5], v[4:5], v[43:44]
	v_mov_b32_e32 v43, v54
	v_mov_b32_e32 v3, v64
	;; [unrolled: 1-line block ×3, first 2 shown]
	s_delay_alu instid0(VALU_DEP_3)
	v_lshlrev_b64_e32 v[42:43], 4, v[42:43]
	v_add_f64_e32 v[44:45], v[23:24], v[72:73]
	v_add_f64_e64 v[72:73], v[72:73], -v[23:24]
	v_add_f64_e32 v[23:24], v[48:49], v[38:39]
	v_add_f64_e64 v[38:39], v[38:39], -v[48:49]
	v_add_f64_e64 v[48:49], v[40:41], -v[62:63]
	v_add_f64_e32 v[40:41], v[62:63], v[40:41]
	v_add_f64_e32 v[62:63], v[50:51], v[66:67]
	v_add_f64_e64 v[50:51], v[66:67], -v[50:51]
	v_add_f64_e64 v[65:66], v[27:28], -v[76:77]
	v_add_f64_e32 v[75:76], v[76:77], v[27:28]
	v_mul_f64_e32 v[27:28], v[13:14], v[32:33]
	v_lshlrev_b64_e32 v[77:78], 4, v[80:81]
	v_lshlrev_b64_e32 v[79:80], 4, v[2:3]
	v_fma_f64 v[9:10], v[9:10], v[19:20], v[88:89]
	v_fma_f64 v[20:21], v[7:8], v[19:20], -v[21:22]
	v_mul_f64_e32 v[6:7], v[11:12], v[32:33]
	v_mul_f64_e32 v[98:99], v[4:5], v[0:1]
	;; [unrolled: 1-line block ×11, first 2 shown]
	v_fma_f64 v[0:1], v[11:12], v[29:30], -v[27:28]
	v_mul_f64_e32 v[94:95], v[75:76], v[9:10]
	v_mul_f64_e32 v[8:9], v[50:51], v[9:10]
	v_fma_f64 v[2:3], v[13:14], v[29:30], v[6:7]
	v_lshlrev_b64_e32 v[28:29], 4, v[52:53]
	v_fma_f64 v[14:15], v[17:18], v[68:69], v[88:89]
	v_fma_f64 v[18:19], v[4:5], v[58:59], v[90:91]
	v_fma_f64 v[16:17], v[72:73], v[58:59], -v[98:99]
	v_fma_f64 v[12:13], v[44:45], v[68:69], -v[70:71]
	v_fma_f64 v[10:11], v[23:24], v[46:47], v[54:55]
	v_fma_f64 v[22:23], v[38:39], v[82:83], v[92:93]
	v_fma_f64 v[6:7], v[62:63], v[34:35], v[31:32]
	v_fma_f64 v[4:5], v[65:66], v[34:35], -v[36:37]
	v_add_co_u32 v34, vcc_lo, v102, v100
	s_wait_alu 0xfffd
	v_add_co_ci_u32_e32 v35, vcc_lo, v103, v101, vcc_lo
	v_add_co_u32 v36, vcc_lo, v102, v42
	s_wait_alu 0xfffd
	v_add_co_ci_u32_e32 v37, vcc_lo, v103, v43, vcc_lo
	v_add_co_u32 v38, vcc_lo, v102, v77
	v_fma_f64 v[26:27], v[50:51], v[20:21], v[94:95]
	v_fma_f64 v[24:25], v[75:76], v[20:21], -v[8:9]
	v_fma_f64 v[20:21], v[40:41], v[82:83], -v[96:97]
	;; [unrolled: 1-line block ×3, first 2 shown]
	s_wait_alu 0xfffd
	v_add_co_ci_u32_e32 v39, vcc_lo, v103, v78, vcc_lo
	v_lshlrev_b64_e32 v[30:31], 4, v[85:86]
	v_add_co_u32 v40, vcc_lo, v102, v79
	s_wait_alu 0xfffd
	v_add_co_ci_u32_e32 v41, vcc_lo, v103, v80, vcc_lo
	v_lshlrev_b64_e32 v[32:33], 4, v[60:61]
	v_add_co_u32 v28, vcc_lo, v102, v28
	s_wait_alu 0xfffd
	v_add_co_ci_u32_e32 v29, vcc_lo, v103, v29, vcc_lo
	v_add_co_u32 v30, vcc_lo, v102, v30
	s_wait_alu 0xfffd
	v_add_co_ci_u32_e32 v31, vcc_lo, v103, v31, vcc_lo
	;; [unrolled: 3-line block ×3, first 2 shown]
	s_clause 0x6
	global_store_b128 v[34:35], v[0:3], off
	global_store_b128 v[36:37], v[24:27], off
	;; [unrolled: 1-line block ×7, first 2 shown]
.LBB0_16:
	s_nop 0
	s_sendmsg sendmsg(MSG_DEALLOC_VGPRS)
	s_endpgm
	.section	.rodata,"a",@progbits
	.p2align	6, 0x0
	.amdhsa_kernel fft_rtc_fwd_len343_factors_7_7_7_wgs_245_tpt_49_dp_op_CI_CI_sbcc_twdbase8_2step_dirReg
		.amdhsa_group_segment_fixed_size 0
		.amdhsa_private_segment_fixed_size 0
		.amdhsa_kernarg_size 112
		.amdhsa_user_sgpr_count 2
		.amdhsa_user_sgpr_dispatch_ptr 0
		.amdhsa_user_sgpr_queue_ptr 0
		.amdhsa_user_sgpr_kernarg_segment_ptr 1
		.amdhsa_user_sgpr_dispatch_id 0
		.amdhsa_user_sgpr_private_segment_size 0
		.amdhsa_wavefront_size32 1
		.amdhsa_uses_dynamic_stack 0
		.amdhsa_enable_private_segment 0
		.amdhsa_system_sgpr_workgroup_id_x 1
		.amdhsa_system_sgpr_workgroup_id_y 0
		.amdhsa_system_sgpr_workgroup_id_z 0
		.amdhsa_system_sgpr_workgroup_info 0
		.amdhsa_system_vgpr_workitem_id 0
		.amdhsa_next_free_vgpr 104
		.amdhsa_next_free_sgpr 61
		.amdhsa_reserve_vcc 1
		.amdhsa_float_round_mode_32 0
		.amdhsa_float_round_mode_16_64 0
		.amdhsa_float_denorm_mode_32 3
		.amdhsa_float_denorm_mode_16_64 3
		.amdhsa_fp16_overflow 0
		.amdhsa_workgroup_processor_mode 1
		.amdhsa_memory_ordered 1
		.amdhsa_forward_progress 0
		.amdhsa_round_robin_scheduling 0
		.amdhsa_exception_fp_ieee_invalid_op 0
		.amdhsa_exception_fp_denorm_src 0
		.amdhsa_exception_fp_ieee_div_zero 0
		.amdhsa_exception_fp_ieee_overflow 0
		.amdhsa_exception_fp_ieee_underflow 0
		.amdhsa_exception_fp_ieee_inexact 0
		.amdhsa_exception_int_div_zero 0
	.end_amdhsa_kernel
	.text
.Lfunc_end0:
	.size	fft_rtc_fwd_len343_factors_7_7_7_wgs_245_tpt_49_dp_op_CI_CI_sbcc_twdbase8_2step_dirReg, .Lfunc_end0-fft_rtc_fwd_len343_factors_7_7_7_wgs_245_tpt_49_dp_op_CI_CI_sbcc_twdbase8_2step_dirReg
                                        ; -- End function
	.section	.AMDGPU.csdata,"",@progbits
; Kernel info:
; codeLenInByte = 6428
; NumSgprs: 63
; NumVgprs: 104
; ScratchSize: 0
; MemoryBound: 1
; FloatMode: 240
; IeeeMode: 1
; LDSByteSize: 0 bytes/workgroup (compile time only)
; SGPRBlocks: 7
; VGPRBlocks: 12
; NumSGPRsForWavesPerEU: 63
; NumVGPRsForWavesPerEU: 104
; Occupancy: 12
; WaveLimiterHint : 1
; COMPUTE_PGM_RSRC2:SCRATCH_EN: 0
; COMPUTE_PGM_RSRC2:USER_SGPR: 2
; COMPUTE_PGM_RSRC2:TRAP_HANDLER: 0
; COMPUTE_PGM_RSRC2:TGID_X_EN: 1
; COMPUTE_PGM_RSRC2:TGID_Y_EN: 0
; COMPUTE_PGM_RSRC2:TGID_Z_EN: 0
; COMPUTE_PGM_RSRC2:TIDIG_COMP_CNT: 0
	.text
	.p2alignl 7, 3214868480
	.fill 96, 4, 3214868480
	.type	__hip_cuid_908f170059bf2806,@object ; @__hip_cuid_908f170059bf2806
	.section	.bss,"aw",@nobits
	.globl	__hip_cuid_908f170059bf2806
__hip_cuid_908f170059bf2806:
	.byte	0                               ; 0x0
	.size	__hip_cuid_908f170059bf2806, 1

	.ident	"AMD clang version 19.0.0git (https://github.com/RadeonOpenCompute/llvm-project roc-6.4.0 25133 c7fe45cf4b819c5991fe208aaa96edf142730f1d)"
	.section	".note.GNU-stack","",@progbits
	.addrsig
	.addrsig_sym __hip_cuid_908f170059bf2806
	.amdgpu_metadata
---
amdhsa.kernels:
  - .args:
      - .actual_access:  read_only
        .address_space:  global
        .offset:         0
        .size:           8
        .value_kind:     global_buffer
      - .address_space:  global
        .offset:         8
        .size:           8
        .value_kind:     global_buffer
      - .offset:         16
        .size:           8
        .value_kind:     by_value
      - .actual_access:  read_only
        .address_space:  global
        .offset:         24
        .size:           8
        .value_kind:     global_buffer
      - .actual_access:  read_only
        .address_space:  global
        .offset:         32
        .size:           8
        .value_kind:     global_buffer
      - .actual_access:  read_only
        .address_space:  global
        .offset:         40
        .size:           8
        .value_kind:     global_buffer
      - .offset:         48
        .size:           8
        .value_kind:     by_value
      - .actual_access:  read_only
        .address_space:  global
        .offset:         56
        .size:           8
        .value_kind:     global_buffer
      - .actual_access:  read_only
        .address_space:  global
        .offset:         64
        .size:           8
        .value_kind:     global_buffer
      - .offset:         72
        .size:           4
        .value_kind:     by_value
      - .actual_access:  read_only
        .address_space:  global
        .offset:         80
        .size:           8
        .value_kind:     global_buffer
      - .actual_access:  read_only
        .address_space:  global
        .offset:         88
        .size:           8
        .value_kind:     global_buffer
      - .actual_access:  read_only
        .address_space:  global
        .offset:         96
        .size:           8
        .value_kind:     global_buffer
      - .actual_access:  write_only
        .address_space:  global
        .offset:         104
        .size:           8
        .value_kind:     global_buffer
    .group_segment_fixed_size: 0
    .kernarg_segment_align: 8
    .kernarg_segment_size: 112
    .language:       OpenCL C
    .language_version:
      - 2
      - 0
    .max_flat_workgroup_size: 245
    .name:           fft_rtc_fwd_len343_factors_7_7_7_wgs_245_tpt_49_dp_op_CI_CI_sbcc_twdbase8_2step_dirReg
    .private_segment_fixed_size: 0
    .sgpr_count:     63
    .sgpr_spill_count: 0
    .symbol:         fft_rtc_fwd_len343_factors_7_7_7_wgs_245_tpt_49_dp_op_CI_CI_sbcc_twdbase8_2step_dirReg.kd
    .uniform_work_group_size: 1
    .uses_dynamic_stack: false
    .vgpr_count:     104
    .vgpr_spill_count: 0
    .wavefront_size: 32
    .workgroup_processor_mode: 1
amdhsa.target:   amdgcn-amd-amdhsa--gfx1201
amdhsa.version:
  - 1
  - 2
...

	.end_amdgpu_metadata
